;; amdgpu-corpus repo=ROCm/rocFFT kind=compiled arch=gfx1030 opt=O3
	.text
	.amdgcn_target "amdgcn-amd-amdhsa--gfx1030"
	.amdhsa_code_object_version 6
	.protected	fft_rtc_back_len125_factors_5_5_5_wgs_250_tpt_25_dim1_sp_ip_CI_sbrr_dirReg ; -- Begin function fft_rtc_back_len125_factors_5_5_5_wgs_250_tpt_25_dim1_sp_ip_CI_sbrr_dirReg
	.globl	fft_rtc_back_len125_factors_5_5_5_wgs_250_tpt_25_dim1_sp_ip_CI_sbrr_dirReg
	.p2align	8
	.type	fft_rtc_back_len125_factors_5_5_5_wgs_250_tpt_25_dim1_sp_ip_CI_sbrr_dirReg,@function
fft_rtc_back_len125_factors_5_5_5_wgs_250_tpt_25_dim1_sp_ip_CI_sbrr_dirReg: ; @fft_rtc_back_len125_factors_5_5_5_wgs_250_tpt_25_dim1_sp_ip_CI_sbrr_dirReg
; %bb.0:
	s_load_dwordx4 s[12:15], s[4:5], 0x10
	v_mul_u32_u24_e32 v1, 0xa3e, v0
                                        ; implicit-def: $vgpr10
                                        ; implicit-def: $vgpr8
                                        ; implicit-def: $vgpr12
                                        ; implicit-def: $vgpr14
	v_lshrrev_b32_e32 v3, 16, v1
	v_mad_u64_u32 v[1:2], null, s6, 10, v[3:4]
	s_waitcnt lgkmcnt(0)
	s_load_dwordx4 s[8:11], s[12:13], 0x0
	s_clause 0x1
	s_load_dwordx2 s[6:7], s[4:5], 0x0
	s_load_dwordx2 s[2:3], s[4:5], 0x48
	s_waitcnt lgkmcnt(0)
	v_mad_u64_u32 v[4:5], null, s10, v1, 0
	v_mov_b32_e32 v2, v5
	v_mad_u64_u32 v[5:6], null, s11, v1, v[2:3]
	v_mul_lo_u16 v3, v3, 25
	v_mov_b32_e32 v2, 0
                                        ; implicit-def: $vgpr6
	v_sub_nc_u16 v0, v0, v3
	v_cmp_gt_u64_e32 vcc_lo, s[14:15], v[1:2]
	v_lshlrev_b64 v[3:4], 3, v[4:5]
	v_and_b32_e32 v0, 0xffff, v0
	s_and_saveexec_b32 s1, vcc_lo
	s_cbranch_execz .LBB0_2
; %bb.1:
	v_mad_u64_u32 v[5:6], null, s8, v0, 0
	v_add_nc_u32_e32 v14, 25, v0
	v_add_nc_u32_e32 v16, 50, v0
	;; [unrolled: 1-line block ×4, first 2 shown]
	v_add_co_u32 v20, s0, s2, v3
	v_mad_u64_u32 v[7:8], null, s8, v14, 0
	v_mad_u64_u32 v[9:10], null, s8, v16, 0
	v_mov_b32_e32 v2, v6
	v_add_co_ci_u32_e64 v21, s0, s3, v4, s0
	v_mad_u64_u32 v[11:12], null, s9, v0, v[2:3]
	v_mov_b32_e32 v2, v8
	v_mov_b32_e32 v6, v10
	v_mad_u64_u32 v[12:13], null, s8, v18, 0
	v_mad_u64_u32 v[14:15], null, s9, v14, v[2:3]
	;; [unrolled: 1-line block ×4, first 2 shown]
	v_mov_b32_e32 v2, v13
	v_mov_b32_e32 v6, v11
	v_mov_b32_e32 v8, v14
	v_mov_b32_e32 v10, v15
	v_mad_u64_u32 v[13:14], null, s9, v18, v[2:3]
	v_mov_b32_e32 v2, v17
	v_lshlrev_b64 v[5:6], 3, v[5:6]
	v_lshlrev_b64 v[7:8], 3, v[7:8]
	;; [unrolled: 1-line block ×3, first 2 shown]
	v_mad_u64_u32 v[14:15], null, s9, v19, v[2:3]
	v_add_co_u32 v5, s0, v20, v5
	v_add_co_ci_u32_e64 v6, s0, v21, v6, s0
	v_add_co_u32 v7, s0, v20, v7
	v_mov_b32_e32 v17, v14
	v_lshlrev_b64 v[11:12], 3, v[12:13]
	v_add_co_ci_u32_e64 v8, s0, v21, v8, s0
	v_add_co_u32 v9, s0, v20, v9
	v_lshlrev_b64 v[13:14], 3, v[16:17]
	v_add_co_ci_u32_e64 v10, s0, v21, v10, s0
	v_add_co_u32 v15, s0, v20, v11
	v_add_co_ci_u32_e64 v16, s0, v21, v12, s0
	v_add_co_u32 v17, s0, v20, v13
	v_add_co_ci_u32_e64 v18, s0, v21, v14, s0
	s_clause 0x4
	global_load_dwordx2 v[5:6], v[5:6], off
	global_load_dwordx2 v[13:14], v[7:8], off
	;; [unrolled: 1-line block ×5, first 2 shown]
	v_mov_b32_e32 v2, v0
.LBB0_2:
	s_or_b32 exec_lo, exec_lo, s1
	v_mul_hi_u32 v15, 0xcccccccd, v1
	s_waitcnt vmcnt(3)
	v_add_f32_e32 v16, v13, v5
	s_waitcnt vmcnt(1)
	v_add_f32_e32 v17, v7, v11
	;; [unrolled: 2-line block ×3, first 2 shown]
	v_sub_f32_e32 v18, v12, v8
	v_sub_f32_e32 v19, v13, v11
	v_add_f32_e32 v16, v11, v16
	v_sub_f32_e32 v21, v9, v7
	v_lshrrev_b32_e32 v23, 3, v15
	v_fma_f32 v15, -0.5, v17, v5
	v_fmac_f32_e32 v5, -0.5, v22
	v_add_f32_e32 v16, v7, v16
	v_sub_f32_e32 v20, v14, v10
	v_mul_lo_u32 v23, v23, 10
	v_sub_f32_e32 v24, v11, v13
	v_sub_f32_e32 v25, v7, v9
	v_add_f32_e32 v27, v21, v19
	v_fmamk_f32 v19, v18, 0x3f737871, v5
	v_add_f32_e32 v21, v9, v16
	v_sub_f32_e32 v9, v13, v9
	v_fmac_f32_e32 v5, 0xbf737871, v18
	v_sub_nc_u32_e32 v1, v1, v23
	v_add_f32_e32 v23, v14, v6
	v_sub_f32_e32 v7, v11, v7
	v_sub_f32_e32 v11, v14, v12
	v_add_f32_e32 v26, v8, v12
	v_fmamk_f32 v17, v20, 0xbf737871, v15
	v_add_f32_e32 v13, v12, v23
	v_sub_f32_e32 v23, v10, v8
	v_fmac_f32_e32 v15, 0x3f737871, v20
	v_fmac_f32_e32 v19, 0xbf167918, v20
	v_add_f32_e32 v22, v25, v24
	v_fmac_f32_e32 v5, 0x3f167918, v20
	v_add_f32_e32 v20, v10, v14
	v_add_f32_e32 v13, v8, v13
	;; [unrolled: 1-line block ×3, first 2 shown]
	v_and_b32_e32 v23, 0xff, v0
	v_mul_u32_u24_e32 v1, 0x7d, v1
	v_fma_f32 v16, -0.5, v26, v6
	v_fmac_f32_e32 v19, 0x3e9e377a, v22
	v_fmac_f32_e32 v5, 0x3e9e377a, v22
	v_fmac_f32_e32 v6, -0.5, v20
	v_add_f32_e32 v22, v10, v13
	v_mul_lo_u16 v13, 0xcd, v23
	v_fmac_f32_e32 v17, 0xbf167918, v18
	v_fmac_f32_e32 v15, 0x3f167918, v18
	v_fmamk_f32 v18, v9, 0x3f737871, v16
	v_fmamk_f32 v20, v7, 0xbf737871, v6
	v_sub_f32_e32 v12, v12, v14
	v_sub_f32_e32 v8, v8, v10
	v_fmac_f32_e32 v6, 0x3f737871, v7
	v_lshlrev_b32_e32 v24, 3, v1
	v_lshrrev_b16 v23, 10, v13
	v_fmac_f32_e32 v18, 0x3f167918, v7
	v_fmac_f32_e32 v16, 0xbf737871, v9
	;; [unrolled: 1-line block ×3, first 2 shown]
	v_add_f32_e32 v1, v8, v12
	v_fmac_f32_e32 v6, 0xbf167918, v9
	v_add_nc_u32_e32 v25, 0, v24
	v_mul_lo_u16 v8, v23, 5
	v_fmac_f32_e32 v17, 0x3e9e377a, v27
	v_fmac_f32_e32 v18, 0x3e9e377a, v11
	v_fmac_f32_e32 v16, 0xbf167918, v7
	v_fmac_f32_e32 v20, 0x3e9e377a, v1
	v_fmac_f32_e32 v6, 0x3e9e377a, v1
	v_mad_u32_u24 v1, v0, 40, v25
	v_sub_nc_u16 v26, v0, v8
	v_mov_b32_e32 v7, 5
	v_fmac_f32_e32 v15, 0x3e9e377a, v27
	v_fmac_f32_e32 v16, 0x3e9e377a, v11
	ds_write2_b64 v1, v[21:22], v[17:18] offset1:1
	ds_write2_b64 v1, v[19:20], v[5:6] offset0:2 offset1:3
	v_and_b32_e32 v22, 0xffff, v23
	v_lshlrev_b32_sdwa v5, v7, v26 dst_sel:DWORD dst_unused:UNUSED_PAD src0_sel:DWORD src1_sel:BYTE_0
	v_mov_b32_e32 v23, 3
	ds_write_b64 v1, v[15:16] offset:32
	s_waitcnt lgkmcnt(0)
	s_barrier
	buffer_gl0_inv
	s_clause 0x1
	global_load_dwordx4 v[6:9], v5, s[6:7]
	global_load_dwordx4 v[10:13], v5, s[6:7] offset:16
	v_lshlrev_b32_e32 v5, 5, v0
	v_lshl_add_u32 v0, v0, 3, v25
	v_mad_u32_u24 v25, 0xc8, v22, 0
	v_lshlrev_b32_sdwa v26, v23, v26 dst_sel:DWORD dst_unused:UNUSED_PAD src0_sel:DWORD src1_sel:BYTE_0
	v_sub_nc_u32_e32 v1, v1, v5
	ds_read2_b64 v[14:17], v1 offset0:25 offset1:50
	ds_read2_b64 v[18:21], v1 offset0:75 offset1:100
	ds_read2_b32 v[22:23], v0 offset1:1
	v_add3_u32 v24, v25, v26, v24
	s_waitcnt vmcnt(0) lgkmcnt(0)
	s_barrier
	buffer_gl0_inv
	v_mul_f32_e32 v25, v7, v15
	v_mul_f32_e32 v7, v7, v14
	;; [unrolled: 1-line block ×8, first 2 shown]
	v_fmac_f32_e32 v25, v6, v14
	v_fma_f32 v6, v6, v15, -v7
	v_fmac_f32_e32 v26, v8, v16
	v_fma_f32 v7, v8, v17, -v9
	;; [unrolled: 2-line block ×4, first 2 shown]
	v_add_f32_e32 v8, v25, v22
	v_add_f32_e32 v10, v26, v27
	v_sub_f32_e32 v11, v25, v26
	v_sub_f32_e32 v12, v28, v27
	v_add_f32_e32 v19, v23, v6
	v_add_f32_e32 v20, v7, v9
	;; [unrolled: 1-line block ×4, first 2 shown]
	v_sub_f32_e32 v14, v6, v13
	v_sub_f32_e32 v15, v7, v9
	;; [unrolled: 1-line block ×7, first 2 shown]
	v_add_f32_e32 v8, v8, v26
	v_fma_f32 v6, -0.5, v10, v22
	v_add_f32_e32 v26, v11, v12
	v_add_f32_e32 v11, v19, v7
	v_fma_f32 v7, -0.5, v20, v23
	v_fma_f32 v22, -0.5, v16, v22
	v_fmac_f32_e32 v23, -0.5, v31
	v_sub_f32_e32 v18, v27, v28
	v_sub_f32_e32 v30, v13, v9
	;; [unrolled: 1-line block ×3, first 2 shown]
	v_add_f32_e32 v12, v8, v27
	v_fmamk_f32 v8, v14, 0xbf737871, v6
	v_add_f32_e32 v19, v11, v9
	v_fmamk_f32 v9, v21, 0x3f737871, v7
	v_fmamk_f32 v10, v15, 0x3f737871, v22
	v_fmac_f32_e32 v22, 0xbf737871, v15
	v_fmamk_f32 v11, v25, 0xbf737871, v23
	v_fmac_f32_e32 v23, 0x3f737871, v25
	v_fmac_f32_e32 v6, 0x3f737871, v14
	;; [unrolled: 1-line block ×3, first 2 shown]
	v_add_f32_e32 v16, v17, v18
	v_add_f32_e32 v17, v29, v30
	v_fmac_f32_e32 v8, 0xbf167918, v15
	v_fmac_f32_e32 v9, 0x3f167918, v25
	v_add_f32_e32 v18, v32, v33
	v_fmac_f32_e32 v10, 0xbf167918, v14
	v_fmac_f32_e32 v22, 0x3f167918, v14
	;; [unrolled: 1-line block ×6, first 2 shown]
	v_add_f32_e32 v12, v12, v28
	v_add_f32_e32 v13, v19, v13
	v_fmac_f32_e32 v8, 0x3e9e377a, v26
	v_fmac_f32_e32 v9, 0x3e9e377a, v17
	;; [unrolled: 1-line block ×8, first 2 shown]
	ds_write2_b64 v24, v[12:13], v[8:9] offset1:5
	ds_write2_b64 v24, v[10:11], v[22:23] offset0:10 offset1:15
	ds_write_b64 v24, v[6:7] offset:160
	s_waitcnt lgkmcnt(0)
	s_barrier
	buffer_gl0_inv
	s_and_saveexec_b32 s0, vcc_lo
	s_cbranch_execz .LBB0_4
; %bb.3:
	s_clause 0x1
	global_load_dwordx4 v[6:9], v5, s[6:7] offset:160
	global_load_dwordx4 v[10:13], v5, s[6:7] offset:176
	v_mad_u64_u32 v[22:23], null, s8, v2, 0
	v_add_nc_u32_e32 v34, 25, v2
	v_add_nc_u32_e32 v35, 50, v2
	;; [unrolled: 1-line block ×4, first 2 shown]
	ds_read2_b64 v[14:17], v1 offset0:25 offset1:50
	v_mad_u64_u32 v[24:25], null, s8, v34, 0
	v_mad_u64_u32 v[26:27], null, s8, v35, 0
	;; [unrolled: 1-line block ×3, first 2 shown]
	v_mov_b32_e32 v5, v23
	v_mad_u64_u32 v[30:31], null, s8, v37, 0
	ds_read2_b64 v[18:21], v1 offset0:75 offset1:100
	ds_read2_b32 v[0:1], v0 offset1:1
	v_mov_b32_e32 v23, v29
	s_waitcnt vmcnt(1)
	v_mad_u64_u32 v[32:33], null, s9, v2, v[5:6]
	v_mov_b32_e32 v2, v25
	v_mov_b32_e32 v5, v27
	;; [unrolled: 1-line block ×3, first 2 shown]
	v_mad_u64_u32 v[33:34], null, s9, v34, v[2:3]
	v_mad_u64_u32 v[34:35], null, s9, v35, v[5:6]
	;; [unrolled: 1-line block ×4, first 2 shown]
	v_mov_b32_e32 v23, v32
	v_mov_b32_e32 v25, v33
	;; [unrolled: 1-line block ×3, first 2 shown]
	v_add_co_u32 v37, vcc_lo, s2, v3
	v_mov_b32_e32 v29, v35
	v_mov_b32_e32 v31, v36
	v_lshlrev_b64 v[2:3], 3, v[22:23]
	v_add_co_ci_u32_e32 v38, vcc_lo, s3, v4, vcc_lo
	v_lshlrev_b64 v[4:5], 3, v[24:25]
	v_lshlrev_b64 v[22:23], 3, v[26:27]
	;; [unrolled: 1-line block ×4, first 2 shown]
	s_waitcnt lgkmcnt(2)
	v_mul_f32_e32 v28, v9, v16
	v_mul_f32_e32 v29, v7, v14
	s_waitcnt vmcnt(0) lgkmcnt(1)
	v_mul_f32_e32 v30, v11, v18
	v_mul_f32_e32 v31, v13, v20
	;; [unrolled: 1-line block ×6, first 2 shown]
	v_add_co_u32 v2, vcc_lo, v37, v2
	v_add_co_ci_u32_e32 v3, vcc_lo, v38, v3, vcc_lo
	v_fma_f32 v11, v8, v17, -v28
	v_fma_f32 v13, v6, v15, -v29
	;; [unrolled: 1-line block ×4, first 2 shown]
	v_fmac_f32_e32 v9, v8, v16
	v_fmac_f32_e32 v32, v10, v18
	;; [unrolled: 1-line block ×4, first 2 shown]
	v_add_co_u32 v4, vcc_lo, v37, v4
	v_add_co_ci_u32_e32 v5, vcc_lo, v38, v5, vcc_lo
	v_add_co_u32 v22, vcc_lo, v37, v22
	v_sub_f32_e32 v6, v11, v13
	v_sub_f32_e32 v8, v15, v17
	v_add_f32_e32 v10, v13, v17
	v_sub_f32_e32 v16, v13, v11
	v_add_f32_e32 v19, v11, v15
	s_waitcnt lgkmcnt(0)
	v_add_f32_e32 v20, v13, v1
	v_sub_f32_e32 v29, v13, v17
	v_add_f32_e32 v13, v7, v33
	v_add_f32_e32 v35, v9, v32
	v_add_co_ci_u32_e32 v23, vcc_lo, v38, v23, vcc_lo
	v_add_co_u32 v24, vcc_lo, v37, v24
	v_add_co_ci_u32_e32 v25, vcc_lo, v38, v25, vcc_lo
	v_add_f32_e32 v36, v7, v0
	v_add_co_u32 v26, vcc_lo, v37, v26
	v_sub_f32_e32 v14, v7, v33
	v_sub_f32_e32 v21, v9, v7
	;; [unrolled: 1-line block ×3, first 2 shown]
	v_add_f32_e32 v37, v6, v8
	v_fma_f32 v7, -0.5, v10, v1
	v_fma_f32 v1, -0.5, v19, v1
	;; [unrolled: 1-line block ×4, first 2 shown]
	v_sub_f32_e32 v12, v9, v32
	v_sub_f32_e32 v30, v11, v15
	v_add_f32_e32 v8, v11, v20
	v_add_f32_e32 v13, v9, v36
	v_sub_f32_e32 v18, v17, v15
	v_sub_f32_e32 v34, v33, v32
	v_fmamk_f32 v11, v14, 0xbf737871, v1
	v_fmac_f32_e32 v1, 0x3f737871, v14
	v_fmamk_f32 v10, v29, 0x3f737871, v0
	v_fmac_f32_e32 v0, 0xbf737871, v29
	v_sub_f32_e32 v28, v32, v33
	v_fmamk_f32 v9, v12, 0x3f737871, v7
	v_fmac_f32_e32 v7, 0xbf737871, v12
	v_add_f32_e32 v15, v15, v8
	v_fmamk_f32 v8, v30, 0xbf737871, v6
	v_fmac_f32_e32 v6, 0x3f737871, v30
	v_add_f32_e32 v20, v32, v13
	v_add_f32_e32 v16, v16, v18
	;; [unrolled: 1-line block ×3, first 2 shown]
	v_fmac_f32_e32 v1, 0x3f167918, v12
	v_fmac_f32_e32 v0, 0xbf167918, v30
	v_add_f32_e32 v18, v21, v28
	v_fmac_f32_e32 v7, 0x3f167918, v14
	v_fmac_f32_e32 v6, 0xbf167918, v29
	;; [unrolled: 1-line block ×6, first 2 shown]
	v_add_f32_e32 v13, v17, v15
	v_add_f32_e32 v12, v33, v20
	v_fmac_f32_e32 v1, 0x3e9e377a, v16
	v_fmac_f32_e32 v0, 0x3e9e377a, v19
	;; [unrolled: 1-line block ×6, first 2 shown]
	v_add_co_ci_u32_e32 v27, vcc_lo, v38, v27, vcc_lo
	v_fmac_f32_e32 v11, 0x3e9e377a, v16
	v_fmac_f32_e32 v10, 0x3e9e377a, v19
	global_store_dwordx2 v[2:3], v[12:13], off
	global_store_dwordx2 v[4:5], v[0:1], off
	;; [unrolled: 1-line block ×5, first 2 shown]
.LBB0_4:
	s_endpgm
	.section	.rodata,"a",@progbits
	.p2align	6, 0x0
	.amdhsa_kernel fft_rtc_back_len125_factors_5_5_5_wgs_250_tpt_25_dim1_sp_ip_CI_sbrr_dirReg
		.amdhsa_group_segment_fixed_size 0
		.amdhsa_private_segment_fixed_size 0
		.amdhsa_kernarg_size 80
		.amdhsa_user_sgpr_count 6
		.amdhsa_user_sgpr_private_segment_buffer 1
		.amdhsa_user_sgpr_dispatch_ptr 0
		.amdhsa_user_sgpr_queue_ptr 0
		.amdhsa_user_sgpr_kernarg_segment_ptr 1
		.amdhsa_user_sgpr_dispatch_id 0
		.amdhsa_user_sgpr_flat_scratch_init 0
		.amdhsa_user_sgpr_private_segment_size 0
		.amdhsa_wavefront_size32 1
		.amdhsa_uses_dynamic_stack 0
		.amdhsa_system_sgpr_private_segment_wavefront_offset 0
		.amdhsa_system_sgpr_workgroup_id_x 1
		.amdhsa_system_sgpr_workgroup_id_y 0
		.amdhsa_system_sgpr_workgroup_id_z 0
		.amdhsa_system_sgpr_workgroup_info 0
		.amdhsa_system_vgpr_workitem_id 0
		.amdhsa_next_free_vgpr 39
		.amdhsa_next_free_sgpr 16
		.amdhsa_reserve_vcc 1
		.amdhsa_reserve_flat_scratch 0
		.amdhsa_float_round_mode_32 0
		.amdhsa_float_round_mode_16_64 0
		.amdhsa_float_denorm_mode_32 3
		.amdhsa_float_denorm_mode_16_64 3
		.amdhsa_dx10_clamp 1
		.amdhsa_ieee_mode 1
		.amdhsa_fp16_overflow 0
		.amdhsa_workgroup_processor_mode 1
		.amdhsa_memory_ordered 1
		.amdhsa_forward_progress 0
		.amdhsa_shared_vgpr_count 0
		.amdhsa_exception_fp_ieee_invalid_op 0
		.amdhsa_exception_fp_denorm_src 0
		.amdhsa_exception_fp_ieee_div_zero 0
		.amdhsa_exception_fp_ieee_overflow 0
		.amdhsa_exception_fp_ieee_underflow 0
		.amdhsa_exception_fp_ieee_inexact 0
		.amdhsa_exception_int_div_zero 0
	.end_amdhsa_kernel
	.text
.Lfunc_end0:
	.size	fft_rtc_back_len125_factors_5_5_5_wgs_250_tpt_25_dim1_sp_ip_CI_sbrr_dirReg, .Lfunc_end0-fft_rtc_back_len125_factors_5_5_5_wgs_250_tpt_25_dim1_sp_ip_CI_sbrr_dirReg
                                        ; -- End function
	.section	.AMDGPU.csdata,"",@progbits
; Kernel info:
; codeLenInByte = 2300
; NumSgprs: 18
; NumVgprs: 39
; ScratchSize: 0
; MemoryBound: 0
; FloatMode: 240
; IeeeMode: 1
; LDSByteSize: 0 bytes/workgroup (compile time only)
; SGPRBlocks: 2
; VGPRBlocks: 4
; NumSGPRsForWavesPerEU: 18
; NumVGPRsForWavesPerEU: 39
; Occupancy: 16
; WaveLimiterHint : 1
; COMPUTE_PGM_RSRC2:SCRATCH_EN: 0
; COMPUTE_PGM_RSRC2:USER_SGPR: 6
; COMPUTE_PGM_RSRC2:TRAP_HANDLER: 0
; COMPUTE_PGM_RSRC2:TGID_X_EN: 1
; COMPUTE_PGM_RSRC2:TGID_Y_EN: 0
; COMPUTE_PGM_RSRC2:TGID_Z_EN: 0
; COMPUTE_PGM_RSRC2:TIDIG_COMP_CNT: 0
	.text
	.p2alignl 6, 3214868480
	.fill 48, 4, 3214868480
	.type	__hip_cuid_e96862aba95f80a6,@object ; @__hip_cuid_e96862aba95f80a6
	.section	.bss,"aw",@nobits
	.globl	__hip_cuid_e96862aba95f80a6
__hip_cuid_e96862aba95f80a6:
	.byte	0                               ; 0x0
	.size	__hip_cuid_e96862aba95f80a6, 1

	.ident	"AMD clang version 19.0.0git (https://github.com/RadeonOpenCompute/llvm-project roc-6.4.0 25133 c7fe45cf4b819c5991fe208aaa96edf142730f1d)"
	.section	".note.GNU-stack","",@progbits
	.addrsig
	.addrsig_sym __hip_cuid_e96862aba95f80a6
	.amdgpu_metadata
---
amdhsa.kernels:
  - .args:
      - .actual_access:  read_only
        .address_space:  global
        .offset:         0
        .size:           8
        .value_kind:     global_buffer
      - .actual_access:  read_only
        .address_space:  global
        .offset:         8
        .size:           8
        .value_kind:     global_buffer
      - .actual_access:  read_only
        .address_space:  global
        .offset:         16
        .size:           8
        .value_kind:     global_buffer
      - .offset:         24
        .size:           8
        .value_kind:     by_value
      - .actual_access:  read_only
        .address_space:  global
        .offset:         32
        .size:           8
        .value_kind:     global_buffer
      - .actual_access:  read_only
        .address_space:  global
        .offset:         40
        .size:           8
        .value_kind:     global_buffer
      - .offset:         48
        .size:           4
        .value_kind:     by_value
      - .actual_access:  read_only
        .address_space:  global
        .offset:         56
        .size:           8
        .value_kind:     global_buffer
      - .actual_access:  read_only
        .address_space:  global
        .offset:         64
        .size:           8
        .value_kind:     global_buffer
      - .address_space:  global
        .offset:         72
        .size:           8
        .value_kind:     global_buffer
    .group_segment_fixed_size: 0
    .kernarg_segment_align: 8
    .kernarg_segment_size: 80
    .language:       OpenCL C
    .language_version:
      - 2
      - 0
    .max_flat_workgroup_size: 250
    .name:           fft_rtc_back_len125_factors_5_5_5_wgs_250_tpt_25_dim1_sp_ip_CI_sbrr_dirReg
    .private_segment_fixed_size: 0
    .sgpr_count:     18
    .sgpr_spill_count: 0
    .symbol:         fft_rtc_back_len125_factors_5_5_5_wgs_250_tpt_25_dim1_sp_ip_CI_sbrr_dirReg.kd
    .uniform_work_group_size: 1
    .uses_dynamic_stack: false
    .vgpr_count:     39
    .vgpr_spill_count: 0
    .wavefront_size: 32
    .workgroup_processor_mode: 1
amdhsa.target:   amdgcn-amd-amdhsa--gfx1030
amdhsa.version:
  - 1
  - 2
...

	.end_amdgpu_metadata
